;; amdgpu-corpus repo=ROCm/rocFFT kind=compiled arch=gfx906 opt=O3
	.text
	.amdgcn_target "amdgcn-amd-amdhsa--gfx906"
	.amdhsa_code_object_version 6
	.protected	bluestein_single_fwd_len252_dim1_sp_op_CI_CI ; -- Begin function bluestein_single_fwd_len252_dim1_sp_op_CI_CI
	.globl	bluestein_single_fwd_len252_dim1_sp_op_CI_CI
	.p2align	8
	.type	bluestein_single_fwd_len252_dim1_sp_op_CI_CI,@function
bluestein_single_fwd_len252_dim1_sp_op_CI_CI: ; @bluestein_single_fwd_len252_dim1_sp_op_CI_CI
; %bb.0:
	s_load_dwordx4 s[0:3], s[4:5], 0x28
	v_mul_u32_u24_e32 v1, 0x411, v0
	v_add_u32_sdwa v32, s6, v1 dst_sel:DWORD dst_unused:UNUSED_PAD src0_sel:DWORD src1_sel:WORD_1
	v_mov_b32_e32 v33, 0
	s_waitcnt lgkmcnt(0)
	v_cmp_gt_u64_e32 vcc, s[0:1], v[32:33]
	s_and_saveexec_b64 s[0:1], vcc
	s_cbranch_execz .LBB0_31
; %bb.1:
	s_load_dwordx2 s[10:11], s[4:5], 0x0
	s_load_dwordx2 s[8:9], s[4:5], 0x38
	v_mov_b32_e32 v2, 63
	v_mul_lo_u16_sdwa v1, v1, v2 dst_sel:DWORD dst_unused:UNUSED_PAD src0_sel:WORD_1 src1_sel:DWORD
	v_sub_u16_e32 v38, v0, v1
	v_cmp_gt_u16_e32 vcc, 36, v38
	v_lshlrev_b32_e32 v37, 3, v38
	s_and_saveexec_b64 s[6:7], vcc
	s_cbranch_execz .LBB0_3
; %bb.2:
	s_load_dwordx2 s[0:1], s[4:5], 0x18
	s_waitcnt lgkmcnt(0)
	s_load_dwordx4 s[12:15], s[0:1], 0x0
	s_waitcnt lgkmcnt(0)
	v_mad_u64_u32 v[0:1], s[0:1], s14, v32, 0
	v_mad_u64_u32 v[2:3], s[0:1], s12, v38, 0
	;; [unrolled: 1-line block ×4, first 2 shown]
	v_mov_b32_e32 v1, v4
	v_lshlrev_b64 v[0:1], 3, v[0:1]
	v_mov_b32_e32 v3, v5
	v_mov_b32_e32 v6, s3
	v_lshlrev_b64 v[2:3], 3, v[2:3]
	v_add_co_u32_e64 v0, s[0:1], s2, v0
	v_addc_co_u32_e64 v1, s[0:1], v6, v1, s[0:1]
	v_add_co_u32_e64 v0, s[0:1], v0, v2
	v_addc_co_u32_e64 v1, s[0:1], v1, v3, s[0:1]
	s_mul_i32 s0, s13, 0x120
	s_mul_hi_u32 s1, s12, 0x120
	s_add_i32 s2, s1, s0
	s_mul_i32 s3, s12, 0x120
	v_mov_b32_e32 v3, s2
	v_add_co_u32_e64 v2, s[0:1], s3, v0
	v_addc_co_u32_e64 v3, s[0:1], v1, v3, s[0:1]
	global_load_dwordx2 v[4:5], v[0:1], off
	global_load_dwordx2 v[6:7], v[2:3], off
	global_load_dwordx2 v[8:9], v37, s[10:11]
	global_load_dwordx2 v[10:11], v37, s[10:11] offset:288
	global_load_dwordx2 v[12:13], v37, s[10:11] offset:576
	;; [unrolled: 1-line block ×3, first 2 shown]
	v_mov_b32_e32 v1, s2
	v_add_co_u32_e64 v0, s[0:1], s3, v2
	v_addc_co_u32_e64 v1, s[0:1], v3, v1, s[0:1]
	v_mov_b32_e32 v16, s2
	v_add_co_u32_e64 v2, s[0:1], s3, v0
	v_addc_co_u32_e64 v3, s[0:1], v1, v16, s[0:1]
	v_mov_b32_e32 v20, s2
	global_load_dwordx2 v[16:17], v[0:1], off
	global_load_dwordx2 v[18:19], v[2:3], off
	v_add_co_u32_e64 v0, s[0:1], s3, v2
	v_addc_co_u32_e64 v1, s[0:1], v3, v20, s[0:1]
	v_mov_b32_e32 v22, s2
	global_load_dwordx2 v[2:3], v[0:1], off
	global_load_dwordx2 v[20:21], v37, s[10:11] offset:1152
	v_add_co_u32_e64 v0, s[0:1], s3, v0
	v_addc_co_u32_e64 v1, s[0:1], v1, v22, s[0:1]
	v_mov_b32_e32 v26, s2
	global_load_dwordx2 v[22:23], v[0:1], off
	global_load_dwordx2 v[24:25], v37, s[10:11] offset:1440
	v_add_co_u32_e64 v0, s[0:1], s3, v0
	v_addc_co_u32_e64 v1, s[0:1], v1, v26, s[0:1]
	global_load_dwordx2 v[26:27], v37, s[10:11] offset:1728
	global_load_dwordx2 v[28:29], v[0:1], off
	s_waitcnt vmcnt(11)
	v_mul_f32_e32 v1, v4, v9
	v_mul_f32_e32 v0, v5, v9
	v_fma_f32 v1, v5, v8, -v1
	v_fmac_f32_e32 v0, v4, v8
	s_waitcnt vmcnt(10)
	v_mul_f32_e32 v5, v6, v11
	v_mul_f32_e32 v4, v7, v11
	v_fma_f32 v5, v7, v10, -v5
	v_fmac_f32_e32 v4, v6, v10
	ds_write2_b64 v37, v[0:1], v[4:5] offset1:36
	s_waitcnt vmcnt(7)
	v_mul_f32_e32 v6, v17, v13
	v_mul_f32_e32 v7, v16, v13
	s_waitcnt vmcnt(6)
	v_mul_f32_e32 v0, v19, v15
	v_mul_f32_e32 v1, v18, v15
	v_fmac_f32_e32 v6, v16, v12
	v_fma_f32 v7, v17, v12, -v7
	v_fmac_f32_e32 v0, v18, v14
	v_fma_f32 v1, v19, v14, -v1
	s_waitcnt vmcnt(4)
	v_mul_f32_e32 v4, v3, v21
	v_mul_f32_e32 v5, v2, v21
	ds_write2_b64 v37, v[6:7], v[0:1] offset0:72 offset1:108
	v_fmac_f32_e32 v4, v2, v20
	v_fma_f32 v5, v3, v20, -v5
	s_waitcnt vmcnt(2)
	v_mul_f32_e32 v0, v23, v25
	v_mul_f32_e32 v1, v22, v25
	v_fmac_f32_e32 v0, v22, v24
	v_fma_f32 v1, v23, v24, -v1
	ds_write2_b64 v37, v[4:5], v[0:1] offset0:144 offset1:180
	s_waitcnt vmcnt(0)
	v_mul_f32_e32 v2, v29, v27
	v_mul_f32_e32 v3, v28, v27
	v_fmac_f32_e32 v2, v28, v26
	v_fma_f32 v3, v29, v26, -v3
	ds_write_b64 v37, v[2:3] offset:1728
.LBB0_3:
	s_or_b64 exec, exec, s[6:7]
	v_mov_b32_e32 v2, 0
	v_mov_b32_e32 v3, 0
	;; [unrolled: 1-line block ×8, first 2 shown]
	s_waitcnt lgkmcnt(0)
	; wave barrier
	s_waitcnt lgkmcnt(0)
                                        ; implicit-def: $vgpr12
	s_and_saveexec_b64 s[0:1], vcc
	s_cbranch_execz .LBB0_5
; %bb.4:
	ds_read2_b64 v[0:3], v37 offset1:36
	ds_read2_b64 v[4:7], v37 offset0:72 offset1:108
	ds_read2_b64 v[8:11], v37 offset0:144 offset1:180
	ds_read_b64 v[12:13], v37 offset:1728
.LBB0_5:
	s_or_b64 exec, exec, s[0:1]
	s_waitcnt lgkmcnt(0)
	v_add_f32_e32 v14, v12, v2
	v_add_f32_e32 v15, v13, v3
	v_sub_f32_e32 v2, v2, v12
	v_sub_f32_e32 v3, v3, v13
	v_add_f32_e32 v12, v10, v4
	v_add_f32_e32 v13, v11, v5
	v_sub_f32_e32 v4, v4, v10
	v_sub_f32_e32 v5, v5, v11
	;; [unrolled: 4-line block ×3, first 2 shown]
	v_add_f32_e32 v8, v14, v12
	v_add_f32_e32 v9, v15, v13
	;; [unrolled: 1-line block ×4, first 2 shown]
	v_sub_f32_e32 v16, v12, v14
	v_sub_f32_e32 v17, v13, v15
	;; [unrolled: 1-line block ×4, first 2 shown]
	v_add_f32_e32 v0, v8, v0
	v_add_f32_e32 v1, v9, v1
	v_sub_f32_e32 v14, v14, v10
	v_sub_f32_e32 v15, v15, v11
	v_add_f32_e32 v18, v4, v6
	v_add_f32_e32 v19, v5, v7
	v_sub_f32_e32 v20, v6, v4
	v_sub_f32_e32 v21, v7, v5
	v_mul_f32_e32 v12, 0x3d64c772, v12
	v_mul_f32_e32 v13, 0x3d64c772, v13
	v_mov_b32_e32 v22, v0
	v_mov_b32_e32 v23, v1
	s_mov_b32 s1, 0x3f3bfb3b
	s_load_dwordx2 s[6:7], s[4:5], 0x20
	s_load_dwordx2 s[2:3], s[4:5], 0x8
	v_sub_f32_e32 v6, v2, v6
	v_sub_f32_e32 v7, v3, v7
	;; [unrolled: 1-line block ×4, first 2 shown]
	v_add_f32_e32 v10, v2, v18
	v_add_f32_e32 v11, v3, v19
	v_mul_f32_e32 v18, 0x3f4a47b2, v14
	v_mul_f32_e32 v19, 0x3f4a47b2, v15
	;; [unrolled: 1-line block ×4, first 2 shown]
	s_mov_b32 s0, 0x3f5ff5aa
	v_fmac_f32_e32 v22, 0xbf955555, v8
	v_fmac_f32_e32 v23, 0xbf955555, v9
	v_fma_f32 v8, v16, s1, -v12
	v_fma_f32 v9, v17, s1, -v13
	s_mov_b32 s1, 0xbf3bfb3b
	v_mul_f32_e32 v20, 0x3f5ff5aa, v4
	v_mul_f32_e32 v21, 0x3f5ff5aa, v5
	v_fmac_f32_e32 v12, 0x3f4a47b2, v14
	v_fmac_f32_e32 v13, 0x3f4a47b2, v15
	v_fma_f32 v14, v16, s1, -v18
	v_fma_f32 v15, v17, s1, -v19
	;; [unrolled: 1-line block ×4, first 2 shown]
	s_mov_b32 s0, 0xbeae86e6
	v_fmac_f32_e32 v2, 0x3eae86e6, v6
	v_fmac_f32_e32 v3, 0x3eae86e6, v7
	v_fma_f32 v5, v6, s0, -v20
	v_fma_f32 v6, v7, s0, -v21
	v_add_f32_e32 v4, v12, v22
	v_add_f32_e32 v7, v13, v23
	;; [unrolled: 1-line block ×6, first 2 shown]
	v_fmac_f32_e32 v2, 0x3ee1c552, v10
	v_fmac_f32_e32 v3, 0x3ee1c552, v11
	;; [unrolled: 1-line block ×6, first 2 shown]
	v_sub_f32_e32 v24, v12, v17
	v_add_f32_e32 v25, v16, v13
	v_add_f32_e32 v14, v12, v17
	v_sub_f32_e32 v15, v13, v16
	v_sub_f32_e32 v12, v8, v6
	v_add_f32_e32 v13, v5, v9
	v_sub_f32_e32 v33, v4, v3
	v_add_f32_e32 v34, v2, v7
	v_mul_lo_u16_e32 v40, 7, v38
	s_waitcnt lgkmcnt(0)
	; wave barrier
	s_waitcnt lgkmcnt(0)
	s_and_saveexec_b64 s[0:1], vcc
	s_cbranch_execz .LBB0_7
; %bb.6:
	v_sub_f32_e32 v9, v9, v5
	v_sub_f32_e32 v5, v7, v2
	v_add_f32_e32 v4, v4, v3
	v_lshlrev_b32_e32 v2, 3, v40
	v_add_f32_e32 v8, v8, v6
	ds_write2_b64 v2, v[0:1], v[4:5] offset1:1
	ds_write2_b64 v2, v[8:9], v[24:25] offset0:2 offset1:3
	ds_write2_b64 v2, v[14:15], v[12:13] offset0:4 offset1:5
	ds_write_b64 v2, v[33:34] offset:48
.LBB0_7:
	s_or_b64 exec, exec, s[0:1]
	s_waitcnt lgkmcnt(0)
	; wave barrier
	s_waitcnt lgkmcnt(0)
	ds_read2_b64 v[8:11], v37 offset1:84
	ds_read_b64 v[16:17], v37 offset:1344
	v_cmp_gt_u16_e64 s[0:1], 21, v38
	s_and_saveexec_b64 s[4:5], s[0:1]
	s_cbranch_execz .LBB0_9
; %bb.8:
	ds_read2_b64 v[0:3], v37 offset0:63 offset1:147
	ds_read_b64 v[12:13], v37 offset:1848
	s_waitcnt lgkmcnt(1)
	v_mov_b32_e32 v24, v0
	v_mov_b32_e32 v25, v1
	;; [unrolled: 1-line block ×4, first 2 shown]
.LBB0_9:
	s_or_b64 exec, exec, s[4:5]
	v_mov_b32_e32 v0, 37
	v_mul_lo_u16_sdwa v1, v38, v0 dst_sel:DWORD dst_unused:UNUSED_PAD src0_sel:BYTE_0 src1_sel:DWORD
	v_sub_u16_sdwa v2, v38, v1 dst_sel:DWORD dst_unused:UNUSED_PAD src0_sel:DWORD src1_sel:BYTE_1
	v_lshrrev_b16_e32 v2, 1, v2
	v_add_u16_e32 v28, 63, v38
	v_and_b32_e32 v2, 0x7f, v2
	v_mul_lo_u16_sdwa v0, v28, v0 dst_sel:DWORD dst_unused:UNUSED_PAD src0_sel:BYTE_0 src1_sel:DWORD
	v_add_u16_sdwa v1, v2, v1 dst_sel:DWORD dst_unused:UNUSED_PAD src0_sel:DWORD src1_sel:BYTE_1
	v_sub_u16_sdwa v2, v28, v0 dst_sel:DWORD dst_unused:UNUSED_PAD src0_sel:DWORD src1_sel:BYTE_1
	v_lshrrev_b16_e32 v2, 1, v2
	v_and_b32_e32 v2, 0x7f, v2
	v_add_u16_sdwa v0, v2, v0 dst_sel:DWORD dst_unused:UNUSED_PAD src0_sel:DWORD src1_sel:BYTE_1
	v_lshrrev_b16_e32 v18, 2, v1
	v_lshrrev_b16_e32 v20, 2, v0
	v_mul_lo_u16_e32 v1, 7, v18
	v_mul_lo_u16_e32 v0, 7, v20
	v_sub_u16_e32 v1, v38, v1
	v_sub_u16_e32 v0, v28, v0
	v_and_b32_e32 v19, 0xff, v1
	v_and_b32_e32 v39, 0xff, v0
	v_lshlrev_b32_e32 v1, 4, v19
	v_lshlrev_b32_e32 v0, 4, v39
	global_load_dwordx4 v[4:7], v1, s[2:3]
	v_mul_u32_u24_e32 v18, 21, v18
	global_load_dwordx4 v[0:3], v0, s[2:3]
	s_load_dwordx4 s[4:7], s[6:7], 0x0
	v_add_lshl_u32 v41, v18, v19, 3
	v_mul_u32_u24_e32 v43, 21, v20
	s_waitcnt lgkmcnt(0)
	; wave barrier
	s_waitcnt vmcnt(1) lgkmcnt(0)
	v_mul_f32_e32 v22, v10, v5
	v_mul_f32_e32 v18, v17, v7
	s_waitcnt vmcnt(0)
	v_mul_f32_e32 v23, v15, v1
	v_mul_f32_e32 v26, v14, v1
	;; [unrolled: 1-line block ×6, first 2 shown]
	v_fmac_f32_e32 v22, v11, v4
	v_fma_f32 v11, v14, v0, -v23
	v_fmac_f32_e32 v26, v15, v0
	v_fma_f32 v12, v12, v2, -v27
	;; [unrolled: 2-line block ×4, first 2 shown]
	v_sub_f32_e32 v23, v26, v29
	v_add_f32_e32 v27, v25, v26
	v_add_f32_e32 v26, v26, v29
	;; [unrolled: 1-line block ×8, first 2 shown]
	v_fmac_f32_e32 v24, -0.5, v30
	v_fmac_f32_e32 v25, -0.5, v26
	v_sub_f32_e32 v21, v22, v19
	v_sub_f32_e32 v22, v10, v16
	;; [unrolled: 1-line block ×3, first 2 shown]
	v_fma_f32 v8, -0.5, v13, v8
	v_fma_f32 v9, -0.5, v14, v9
	v_add_f32_e32 v10, v15, v16
	v_add_f32_e32 v11, v17, v19
	;; [unrolled: 1-line block ×3, first 2 shown]
	v_mov_b32_e32 v18, v24
	v_mov_b32_e32 v19, v25
	v_add_f32_e32 v17, v27, v29
	v_mov_b32_e32 v12, v8
	v_fmac_f32_e32 v8, 0xbf5db3d7, v21
	v_mov_b32_e32 v13, v9
	v_fmac_f32_e32 v9, 0x3f5db3d7, v22
	v_fmac_f32_e32 v24, 0xbf5db3d7, v23
	;; [unrolled: 1-line block ×7, first 2 shown]
	ds_write_b64 v41, v[8:9] offset:112
	ds_write2_b64 v41, v[10:11], v[12:13] offset1:7
	s_and_saveexec_b64 s[12:13], s[0:1]
	s_cbranch_execz .LBB0_11
; %bb.10:
	v_add_lshl_u32 v8, v43, v39, 3
	ds_write2_b64 v8, v[16:17], v[18:19] offset1:7
	ds_write_b64 v8, v[24:25] offset:112
.LBB0_11:
	s_or_b64 exec, exec, s[12:13]
	s_waitcnt lgkmcnt(0)
	; wave barrier
	s_waitcnt lgkmcnt(0)
	ds_read2_b64 v[20:23], v37 offset1:84
	ds_read_b64 v[26:27], v37 offset:1344
	s_and_saveexec_b64 s[12:13], s[0:1]
	s_cbranch_execz .LBB0_13
; %bb.12:
	ds_read2_b64 v[16:19], v37 offset0:63 offset1:147
	ds_read_b64 v[24:25], v37 offset:1848
.LBB0_13:
	s_or_b64 exec, exec, s[12:13]
	s_movk_i32 s12, 0x87
	v_mul_lo_u16_sdwa v8, v38, s12 dst_sel:DWORD dst_unused:UNUSED_PAD src0_sel:BYTE_0 src1_sel:DWORD
	v_sub_u16_sdwa v9, v38, v8 dst_sel:DWORD dst_unused:UNUSED_PAD src0_sel:DWORD src1_sel:BYTE_1
	v_lshrrev_b16_e32 v9, 1, v9
	v_and_b32_e32 v9, 0x7f, v9
	v_mul_lo_u16_sdwa v10, v28, s12 dst_sel:DWORD dst_unused:UNUSED_PAD src0_sel:BYTE_0 src1_sel:DWORD
	v_add_u16_sdwa v8, v9, v8 dst_sel:DWORD dst_unused:UNUSED_PAD src0_sel:DWORD src1_sel:BYTE_1
	v_sub_u16_sdwa v11, v28, v10 dst_sel:DWORD dst_unused:UNUSED_PAD src0_sel:DWORD src1_sel:BYTE_1
	v_lshrrev_b16_e32 v8, 4, v8
	v_lshrrev_b16_e32 v11, 1, v11
	v_and_b32_e32 v29, 15, v8
	v_and_b32_e32 v11, 0x7f, v11
	v_mul_lo_u16_e32 v8, 21, v29
	v_add_u16_sdwa v10, v11, v10 dst_sel:DWORD dst_unused:UNUSED_PAD src0_sel:DWORD src1_sel:BYTE_1
	v_sub_u16_e32 v30, v38, v8
	v_mov_b32_e32 v8, 4
	v_lshrrev_b16_e32 v10, 4, v10
	v_lshlrev_b32_sdwa v9, v8, v30 dst_sel:DWORD dst_unused:UNUSED_PAD src0_sel:DWORD src1_sel:BYTE_0
	v_and_b32_e32 v10, 15, v10
	global_load_dwordx4 v[12:15], v9, s[2:3] offset:112
	v_mul_lo_u16_e32 v9, 21, v10
	v_sub_u16_e32 v42, v28, v9
	v_lshlrev_b32_sdwa v8, v8, v42 dst_sel:DWORD dst_unused:UNUSED_PAD src0_sel:DWORD src1_sel:BYTE_0
	global_load_dwordx4 v[8:11], v8, s[2:3] offset:112
	v_mov_b32_e32 v28, 3
	v_mad_legacy_u16 v29, v29, 63, v30
	v_lshlrev_b32_sdwa v44, v28, v29 dst_sel:DWORD dst_unused:UNUSED_PAD src0_sel:DWORD src1_sel:BYTE_0
	s_waitcnt lgkmcnt(0)
	; wave barrier
	s_waitcnt vmcnt(1) lgkmcnt(0)
	v_mul_f32_e32 v31, v23, v13
	v_mul_f32_e32 v35, v22, v13
	;; [unrolled: 1-line block ×4, first 2 shown]
	s_waitcnt vmcnt(0)
	v_mul_f32_e32 v46, v19, v9
	v_mul_f32_e32 v29, v18, v9
	;; [unrolled: 1-line block ×4, first 2 shown]
	v_fma_f32 v22, v22, v12, -v31
	v_fmac_f32_e32 v35, v23, v12
	v_fma_f32 v23, v26, v14, -v36
	v_fmac_f32_e32 v45, v27, v14
	;; [unrolled: 2-line block ×4, first 2 shown]
	v_add_f32_e32 v26, v20, v22
	v_add_f32_e32 v24, v22, v23
	;; [unrolled: 1-line block ×3, first 2 shown]
	v_sub_f32_e32 v31, v35, v45
	v_add_f32_e32 v27, v21, v35
	v_sub_f32_e32 v46, v22, v23
	v_add_f32_e32 v22, v18, v19
	v_add_f32_e32 v35, v29, v30
	v_fma_f32 v24, -0.5, v24, v20
	v_fma_f32 v25, -0.5, v25, v21
	v_add_f32_e32 v26, v26, v23
	v_fma_f32 v22, -0.5, v22, v16
	v_fma_f32 v23, -0.5, v35, v17
	v_sub_f32_e32 v47, v29, v30
	v_sub_f32_e32 v48, v18, v19
	v_mov_b32_e32 v35, v24
	v_mov_b32_e32 v36, v25
	;; [unrolled: 1-line block ×4, first 2 shown]
	v_add_f32_e32 v27, v27, v45
	v_fmac_f32_e32 v22, 0xbf5db3d7, v47
	v_fmac_f32_e32 v23, 0x3f5db3d7, v48
	;; [unrolled: 1-line block ×8, first 2 shown]
	ds_write2_b64 v44, v[26:27], v[35:36] offset1:21
	ds_write_b64 v44, v[24:25] offset:336
	s_and_saveexec_b64 s[12:13], s[0:1]
	s_cbranch_execz .LBB0_15
; %bb.14:
	v_add_f32_e32 v17, v17, v29
	v_add_f32_e32 v16, v16, v18
	;; [unrolled: 1-line block ×4, first 2 shown]
	v_lshlrev_b32_sdwa v18, v28, v42 dst_sel:DWORD dst_unused:UNUSED_PAD src0_sel:DWORD src1_sel:BYTE_0
	ds_write2_b64 v18, v[16:17], v[20:21] offset0:189 offset1:210
	ds_write_b64 v18, v[22:23] offset:1848
.LBB0_15:
	s_or_b64 exec, exec, s[12:13]
	v_mad_u64_u32 v[24:25], s[2:3], v38, 24, s[2:3]
	s_waitcnt lgkmcnt(0)
	; wave barrier
	s_waitcnt lgkmcnt(0)
	global_load_dwordx4 v[16:19], v[24:25], off offset:448
	global_load_dwordx2 v[35:36], v[24:25], off offset:464
	ds_read2_b64 v[24:27], v37 offset0:63 offset1:126
	ds_read_b64 v[28:29], v37
	ds_read_b64 v[30:31], v37 offset:1512
	s_waitcnt vmcnt(1) lgkmcnt(2)
	v_mul_f32_e32 v45, v25, v17
	v_mul_f32_e32 v46, v24, v17
	;; [unrolled: 1-line block ×4, first 2 shown]
	s_waitcnt vmcnt(0) lgkmcnt(0)
	v_mul_f32_e32 v49, v31, v36
	v_mul_f32_e32 v50, v30, v36
	v_fma_f32 v24, v24, v16, -v45
	v_fmac_f32_e32 v46, v25, v16
	v_fma_f32 v25, v26, v18, -v47
	v_fmac_f32_e32 v48, v27, v18
	;; [unrolled: 2-line block ×3, first 2 shown]
	v_sub_f32_e32 v25, v28, v25
	v_sub_f32_e32 v27, v29, v48
	;; [unrolled: 1-line block ×4, first 2 shown]
	v_fma_f32 v45, v28, 2.0, -v25
	v_fma_f32 v47, v29, 2.0, -v27
	;; [unrolled: 1-line block ×4, first 2 shown]
	v_sub_f32_e32 v30, v25, v30
	v_add_f32_e32 v31, v27, v26
	v_sub_f32_e32 v28, v45, v24
	v_sub_f32_e32 v29, v47, v29
	v_fma_f32 v26, v25, 2.0, -v30
	v_fma_f32 v27, v27, 2.0, -v31
	;; [unrolled: 1-line block ×4, first 2 shown]
	ds_write_b64 v37, v[26:27] offset:504
	ds_write2_b64 v37, v[28:29], v[30:31] offset0:126 offset1:189
	ds_write_b64 v37, v[24:25]
	s_waitcnt lgkmcnt(0)
	; wave barrier
	s_waitcnt lgkmcnt(0)
	s_and_saveexec_b64 s[2:3], vcc
	s_cbranch_execz .LBB0_17
; %bb.16:
	ds_read_b64 v[45:46], v37
	global_load_dwordx2 v[47:48], v37, s[10:11] offset:2016
	s_add_u32 s12, s10, 0x7e0
	s_addc_u32 s13, s11, 0
	s_waitcnt vmcnt(0) lgkmcnt(0)
	v_mul_f32_e32 v49, v46, v48
	v_mul_f32_e32 v50, v45, v48
	v_fma_f32 v49, v45, v47, -v49
	v_fmac_f32_e32 v50, v46, v47
	ds_write_b64 v37, v[49:50]
	global_load_dwordx2 v[49:50], v37, s[12:13] offset:288
	ds_read2_b64 v[45:48], v37 offset0:36 offset1:72
	s_waitcnt vmcnt(0) lgkmcnt(0)
	v_mul_f32_e32 v51, v46, v50
	v_mul_f32_e32 v52, v45, v50
	v_fma_f32 v51, v45, v49, -v51
	v_fmac_f32_e32 v52, v46, v49
	global_load_dwordx2 v[45:46], v37, s[12:13] offset:576
	s_waitcnt vmcnt(0)
	v_mul_f32_e32 v49, v48, v46
	v_mul_f32_e32 v50, v47, v46
	v_fma_f32 v49, v47, v45, -v49
	v_fmac_f32_e32 v50, v48, v45
	ds_write2_b64 v37, v[51:52], v[49:50] offset0:36 offset1:72
	global_load_dwordx2 v[49:50], v37, s[12:13] offset:864
	ds_read2_b64 v[45:48], v37 offset0:108 offset1:144
	s_waitcnt vmcnt(0) lgkmcnt(0)
	v_mul_f32_e32 v51, v46, v50
	v_mul_f32_e32 v52, v45, v50
	v_fma_f32 v51, v45, v49, -v51
	v_fmac_f32_e32 v52, v46, v49
	global_load_dwordx2 v[45:46], v37, s[12:13] offset:1152
	s_waitcnt vmcnt(0)
	v_mul_f32_e32 v49, v48, v46
	v_mul_f32_e32 v50, v47, v46
	v_fma_f32 v49, v47, v45, -v49
	v_fmac_f32_e32 v50, v48, v45
	ds_write2_b64 v37, v[51:52], v[49:50] offset0:108 offset1:144
	global_load_dwordx2 v[49:50], v37, s[12:13] offset:1440
	ds_read2_b64 v[45:48], v37 offset0:180 offset1:216
	s_waitcnt vmcnt(0) lgkmcnt(0)
	v_mul_f32_e32 v51, v46, v50
	v_mul_f32_e32 v52, v45, v50
	v_fma_f32 v51, v45, v49, -v51
	v_fmac_f32_e32 v52, v46, v49
	global_load_dwordx2 v[45:46], v37, s[12:13] offset:1728
	s_waitcnt vmcnt(0)
	v_mul_f32_e32 v49, v48, v46
	v_mul_f32_e32 v50, v47, v46
	v_fma_f32 v49, v47, v45, -v49
	v_fmac_f32_e32 v50, v48, v45
	ds_write2_b64 v37, v[51:52], v[49:50] offset0:180 offset1:216
.LBB0_17:
	s_or_b64 exec, exec, s[2:3]
	s_waitcnt lgkmcnt(0)
	; wave barrier
	s_waitcnt lgkmcnt(0)
	s_and_saveexec_b64 s[2:3], vcc
	s_cbranch_execz .LBB0_19
; %bb.18:
	ds_read2_b64 v[24:27], v37 offset1:36
	ds_read2_b64 v[28:31], v37 offset0:72 offset1:108
	ds_read2_b64 v[20:23], v37 offset0:144 offset1:180
	ds_read_b64 v[33:34], v37 offset:1728
.LBB0_19:
	s_or_b64 exec, exec, s[2:3]
	s_waitcnt lgkmcnt(0)
	v_add_f32_e32 v45, v33, v26
	v_sub_f32_e32 v26, v26, v33
	v_add_f32_e32 v33, v22, v28
	v_add_f32_e32 v46, v34, v27
	v_sub_f32_e32 v27, v27, v34
	v_add_f32_e32 v34, v23, v29
	;; [unrolled: 3-line block ×3, first 2 shown]
	v_sub_f32_e32 v22, v28, v22
	v_sub_f32_e32 v23, v29, v23
	v_add_f32_e32 v48, v31, v21
	v_sub_f32_e32 v21, v21, v31
	v_add_f32_e32 v31, v34, v46
	v_add_f32_e32 v56, v47, v30
	v_sub_f32_e32 v51, v33, v45
	v_sub_f32_e32 v52, v34, v46
	;; [unrolled: 1-line block ×5, first 2 shown]
	v_add_f32_e32 v34, v20, v22
	v_sub_f32_e32 v54, v20, v22
	v_sub_f32_e32 v55, v21, v23
	;; [unrolled: 1-line block ×3, first 2 shown]
	v_add_f32_e32 v57, v48, v31
	v_add_f32_e32 v20, v24, v56
	v_sub_f32_e32 v50, v46, v48
	v_add_f32_e32 v46, v21, v23
	v_sub_f32_e32 v29, v27, v21
	v_sub_f32_e32 v22, v22, v26
	;; [unrolled: 1-line block ×3, first 2 shown]
	v_add_f32_e32 v21, v25, v57
	v_mul_f32_e32 v30, 0x3f4a47b2, v49
	v_mul_f32_e32 v31, 0x3d64c772, v33
	;; [unrolled: 1-line block ×5, first 2 shown]
	s_mov_b32 s2, 0xbf5ff5aa
	v_mov_b32_e32 v48, v20
	s_mov_b32 s3, 0x3f3bfb3b
	v_add_f32_e32 v45, v34, v26
	v_add_f32_e32 v46, v46, v27
	v_mul_f32_e32 v34, 0x3f4a47b2, v50
	v_mul_f32_e32 v24, 0xbf5ff5aa, v22
	;; [unrolled: 1-line block ×3, first 2 shown]
	v_fmac_f32_e32 v48, 0xbf955555, v56
	v_mov_b32_e32 v50, v21
	v_fma_f32 v26, v51, s3, -v31
	v_fma_f32 v27, v52, s3, -v47
	s_mov_b32 s3, 0xbf3bfb3b
	v_fma_f32 v55, v22, s2, -v49
	v_fma_f32 v56, v23, s2, -v33
	s_mov_b32 s2, 0x3eae86e6
	v_fmac_f32_e32 v50, 0xbf955555, v57
	v_fma_f32 v53, v51, s3, -v30
	v_fma_f32 v54, v52, s3, -v34
	;; [unrolled: 1-line block ×4, first 2 shown]
	v_add_f32_e32 v24, v26, v48
	v_add_f32_e32 v25, v27, v50
	;; [unrolled: 1-line block ×4, first 2 shown]
	v_fmac_f32_e32 v55, 0xbee1c552, v45
	v_fmac_f32_e32 v56, 0xbee1c552, v46
	v_fmac_f32_e32 v51, 0xbee1c552, v45
	v_fmac_f32_e32 v52, 0xbee1c552, v46
	v_sub_f32_e32 v22, v24, v56
	v_add_f32_e32 v23, v55, v25
	v_add_f32_e32 v24, v56, v24
	v_sub_f32_e32 v25, v25, v55
	v_sub_f32_e32 v26, v53, v52
	v_add_f32_e32 v27, v51, v54
	s_waitcnt lgkmcnt(0)
	; wave barrier
	s_and_saveexec_b64 s[2:3], vcc
	s_cbranch_execz .LBB0_21
; %bb.20:
	v_mul_f32_e32 v28, 0xbeae86e6, v28
	v_mul_f32_e32 v45, 0xbee1c552, v45
	v_add_f32_e32 v28, v49, v28
	v_add_f32_e32 v45, v45, v28
	;; [unrolled: 1-line block ×3, first 2 shown]
	v_mul_f32_e32 v55, 0xbeae86e6, v29
	v_add_f32_e32 v34, v28, v50
	v_add_f32_e32 v28, v31, v30
	v_mul_f32_e32 v46, 0xbee1c552, v46
	v_add_f32_e32 v47, v28, v48
	v_add_f32_e32 v28, v33, v55
	;; [unrolled: 1-line block ×4, first 2 shown]
	v_sub_f32_e32 v28, v47, v33
	v_sub_f32_e32 v34, v34, v45
	v_add_f32_e32 v33, v47, v33
	v_lshlrev_b32_e32 v40, 3, v40
	v_sub_f32_e32 v31, v54, v51
	v_add_f32_e32 v30, v52, v53
	ds_write2_b64 v40, v[20:21], v[33:34] offset1:1
	ds_write2_b64 v40, v[30:31], v[22:23] offset0:2 offset1:3
	ds_write2_b64 v40, v[24:25], v[26:27] offset0:4 offset1:5
	ds_write_b64 v40, v[28:29] offset:48
.LBB0_21:
	s_or_b64 exec, exec, s[2:3]
	s_waitcnt lgkmcnt(0)
	; wave barrier
	s_waitcnt lgkmcnt(0)
	ds_read2_b64 v[28:31], v37 offset1:84
	ds_read_b64 v[20:21], v37 offset:1344
	s_and_saveexec_b64 s[2:3], s[0:1]
	s_cbranch_execz .LBB0_23
; %bb.22:
	ds_read_b64 v[22:23], v37 offset:504
	ds_read2_b64 v[24:27], v37 offset0:147 offset1:231
.LBB0_23:
	s_or_b64 exec, exec, s[2:3]
	s_waitcnt lgkmcnt(1)
	v_mul_f32_e32 v33, v5, v31
	v_mul_f32_e32 v5, v5, v30
	v_fmac_f32_e32 v33, v4, v30
	v_fma_f32 v4, v4, v31, -v5
	s_waitcnt lgkmcnt(0)
	v_mul_f32_e32 v5, v7, v21
	v_mul_f32_e32 v7, v7, v20
	v_fmac_f32_e32 v5, v6, v20
	v_fma_f32 v7, v6, v21, -v7
	v_mul_f32_e32 v21, v1, v25
	v_mul_f32_e32 v1, v1, v24
	v_fmac_f32_e32 v21, v0, v24
	v_fma_f32 v24, v0, v25, -v1
	v_mul_f32_e32 v25, v3, v27
	v_mul_f32_e32 v0, v3, v26
	v_add_f32_e32 v1, v33, v5
	v_fmac_f32_e32 v25, v2, v26
	v_fma_f32 v26, v2, v27, -v0
	v_fma_f32 v2, -0.5, v1, v28
	v_sub_f32_e32 v1, v4, v7
	v_mov_b32_e32 v6, v2
	v_add_f32_e32 v3, v4, v7
	v_add_f32_e32 v0, v28, v33
	v_fmac_f32_e32 v6, 0xbf5db3d7, v1
	v_fmac_f32_e32 v2, 0x3f5db3d7, v1
	v_add_f32_e32 v1, v29, v4
	v_fma_f32 v3, -0.5, v3, v29
	v_add_f32_e32 v0, v0, v5
	v_add_f32_e32 v1, v1, v7
	v_sub_f32_e32 v4, v33, v5
	v_mov_b32_e32 v7, v3
	v_add_f32_e32 v5, v25, v21
	v_fmac_f32_e32 v7, 0x3f5db3d7, v4
	v_fmac_f32_e32 v3, 0xbf5db3d7, v4
	v_add_f32_e32 v4, v22, v21
	v_fmac_f32_e32 v22, -0.5, v5
	v_sub_f32_e32 v5, v24, v26
	v_mov_b32_e32 v20, v22
	v_fmac_f32_e32 v20, 0xbf5db3d7, v5
	v_fmac_f32_e32 v22, 0x3f5db3d7, v5
	v_add_f32_e32 v5, v23, v24
	v_add_f32_e32 v24, v26, v24
	v_fmac_f32_e32 v23, -0.5, v24
	v_sub_f32_e32 v24, v21, v25
	v_mov_b32_e32 v21, v23
	v_add_f32_e32 v4, v25, v4
	v_add_f32_e32 v5, v26, v5
	v_fmac_f32_e32 v21, 0x3f5db3d7, v24
	v_fmac_f32_e32 v23, 0xbf5db3d7, v24
	s_waitcnt lgkmcnt(0)
	; wave barrier
	ds_write2_b64 v41, v[0:1], v[6:7] offset1:7
	ds_write_b64 v41, v[2:3] offset:112
	s_and_saveexec_b64 s[2:3], s[0:1]
	s_cbranch_execz .LBB0_25
; %bb.24:
	v_add_lshl_u32 v0, v43, v39, 3
	ds_write2_b64 v0, v[4:5], v[20:21] offset1:7
	ds_write_b64 v0, v[22:23] offset:112
.LBB0_25:
	s_or_b64 exec, exec, s[2:3]
	s_waitcnt lgkmcnt(0)
	; wave barrier
	s_waitcnt lgkmcnt(0)
	ds_read2_b64 v[0:3], v37 offset1:84
	ds_read_b64 v[6:7], v37 offset:1344
	s_and_saveexec_b64 s[2:3], s[0:1]
	s_cbranch_execz .LBB0_27
; %bb.26:
	ds_read_b64 v[4:5], v37 offset:504
	ds_read2_b64 v[20:23], v37 offset0:147 offset1:231
.LBB0_27:
	s_or_b64 exec, exec, s[2:3]
	s_waitcnt lgkmcnt(1)
	v_mul_f32_e32 v24, v13, v3
	v_fmac_f32_e32 v24, v12, v2
	v_mul_f32_e32 v2, v13, v2
	s_waitcnt lgkmcnt(0)
	v_mul_f32_e32 v13, v15, v7
	v_fmac_f32_e32 v13, v14, v6
	v_fma_f32 v12, v12, v3, -v2
	v_mul_f32_e32 v2, v15, v6
	v_add_f32_e32 v3, v24, v13
	v_fma_f32 v7, v14, v7, -v2
	v_add_f32_e32 v2, v0, v24
	v_fma_f32 v0, -0.5, v3, v0
	v_sub_f32_e32 v3, v12, v7
	v_mov_b32_e32 v6, v0
	v_fmac_f32_e32 v6, 0xbf5db3d7, v3
	v_fmac_f32_e32 v0, 0x3f5db3d7, v3
	v_add_f32_e32 v3, v1, v12
	v_add_f32_e32 v3, v3, v7
	;; [unrolled: 1-line block ×3, first 2 shown]
	v_fma_f32 v1, -0.5, v7, v1
	v_sub_f32_e32 v12, v24, v13
	v_mov_b32_e32 v7, v1
	v_add_f32_e32 v2, v2, v13
	v_fmac_f32_e32 v7, 0x3f5db3d7, v12
	v_fmac_f32_e32 v1, 0xbf5db3d7, v12
	s_waitcnt lgkmcnt(0)
	; wave barrier
	ds_write2_b64 v44, v[2:3], v[6:7] offset1:21
	ds_write_b64 v44, v[0:1] offset:336
	s_and_saveexec_b64 s[2:3], s[0:1]
	s_cbranch_execz .LBB0_29
; %bb.28:
	v_mul_f32_e32 v6, v9, v21
	v_mul_f32_e32 v0, v9, v20
	v_fmac_f32_e32 v6, v8, v20
	v_fma_f32 v8, v8, v21, -v0
	v_mul_f32_e32 v0, v11, v22
	v_mul_f32_e32 v7, v11, v23
	v_fma_f32 v9, v10, v23, -v0
	v_fmac_f32_e32 v7, v10, v22
	v_add_f32_e32 v0, v9, v8
	v_fma_f32 v1, -0.5, v0, v5
	v_add_f32_e32 v0, v7, v6
	v_fma_f32 v0, -0.5, v0, v4
	v_sub_f32_e32 v12, v6, v7
	v_mov_b32_e32 v3, v1
	v_sub_f32_e32 v10, v8, v9
	v_mov_b32_e32 v2, v0
	v_add_f32_e32 v5, v5, v8
	v_add_f32_e32 v4, v4, v6
	v_mov_b32_e32 v6, 3
	v_fmac_f32_e32 v3, 0x3f5db3d7, v12
	v_fmac_f32_e32 v2, 0xbf5db3d7, v10
	v_add_f32_e32 v5, v9, v5
	v_add_f32_e32 v4, v7, v4
	v_lshlrev_b32_sdwa v6, v6, v42 dst_sel:DWORD dst_unused:UNUSED_PAD src0_sel:DWORD src1_sel:BYTE_0
	v_fmac_f32_e32 v1, 0xbf5db3d7, v12
	v_fmac_f32_e32 v0, 0x3f5db3d7, v10
	ds_write2_b64 v6, v[4:5], v[2:3] offset0:189 offset1:210
	ds_write_b64 v6, v[0:1] offset:1848
.LBB0_29:
	s_or_b64 exec, exec, s[2:3]
	s_waitcnt lgkmcnt(0)
	; wave barrier
	s_waitcnt lgkmcnt(0)
	ds_read2_b64 v[0:3], v37 offset0:63 offset1:126
	ds_read_b64 v[4:5], v37
	ds_read_b64 v[6:7], v37 offset:1512
	s_waitcnt lgkmcnt(2)
	v_mul_f32_e32 v8, v17, v1
	v_fmac_f32_e32 v8, v16, v0
	v_mul_f32_e32 v0, v17, v0
	v_fma_f32 v0, v16, v1, -v0
	v_mul_f32_e32 v1, v19, v3
	v_fmac_f32_e32 v1, v18, v2
	v_mul_f32_e32 v2, v19, v2
	v_fma_f32 v2, v18, v3, -v2
	s_waitcnt lgkmcnt(0)
	v_mul_f32_e32 v3, v36, v7
	v_fmac_f32_e32 v3, v35, v6
	v_mul_f32_e32 v6, v36, v6
	v_fma_f32 v6, v35, v7, -v6
	v_sub_f32_e32 v7, v4, v1
	v_sub_f32_e32 v9, v5, v2
	v_fma_f32 v2, v4, 2.0, -v7
	v_fma_f32 v4, v5, 2.0, -v9
	v_sub_f32_e32 v5, v8, v3
	v_sub_f32_e32 v6, v0, v6
	v_fma_f32 v1, v8, 2.0, -v5
	v_fma_f32 v3, v0, 2.0, -v6
	;; [unrolled: 4-line block ×3, first 2 shown]
	v_add_f32_e32 v4, v7, v6
	v_sub_f32_e32 v5, v9, v5
	v_fma_f32 v6, v7, 2.0, -v4
	v_fma_f32 v7, v9, 2.0, -v5
	ds_write_b64 v37, v[2:3]
	ds_write_b64 v37, v[6:7] offset:504
	ds_write2_b64 v37, v[0:1], v[4:5] offset0:126 offset1:189
	s_waitcnt lgkmcnt(0)
	; wave barrier
	s_waitcnt lgkmcnt(0)
	s_and_b64 exec, exec, vcc
	s_cbranch_execz .LBB0_31
; %bb.30:
	global_load_dwordx2 v[8:9], v37, s[10:11]
	global_load_dwordx2 v[10:11], v37, s[10:11] offset:288
	global_load_dwordx2 v[12:13], v37, s[10:11] offset:576
	;; [unrolled: 1-line block ×4, first 2 shown]
	ds_read_b64 v[18:19], v37
	ds_read2_b64 v[0:3], v37 offset0:36 offset1:72
	ds_read2_b64 v[4:7], v37 offset0:108 offset1:144
	global_load_dwordx2 v[24:25], v37, s[10:11] offset:1440
	global_load_dwordx2 v[26:27], v37, s[10:11] offset:1728
	v_mad_u64_u32 v[20:21], s[0:1], s6, v32, 0
	v_mad_u64_u32 v[22:23], s[2:3], s4, v38, 0
	s_mul_i32 s2, s5, 0x120
	s_mul_hi_u32 s3, s4, 0x120
	s_add_i32 s6, s3, s2
	v_mad_u64_u32 v[28:29], s[2:3], s7, v32, v[21:22]
	v_mov_b32_e32 v31, s9
	s_mulk_i32 s4, 0x120
	v_mov_b32_e32 v21, v28
	v_lshlrev_b64 v[20:21], 3, v[20:21]
	v_mov_b32_e32 v33, s6
	v_add_co_u32_e32 v20, vcc, s8, v20
	v_addc_co_u32_e32 v21, vcc, v31, v21, vcc
	s_mov_b32 s0, 0x10410410
	s_mov_b32 s1, 0x3f704104
	v_mov_b32_e32 v32, s6
	s_waitcnt vmcnt(5) lgkmcnt(1)
	v_mul_f32_e32 v31, v1, v11
	v_mul_f32_e32 v11, v0, v11
	s_waitcnt vmcnt(3) lgkmcnt(0)
	v_mul_f32_e32 v34, v5, v15
	v_mul_f32_e32 v15, v4, v15
	s_waitcnt vmcnt(2)
	v_mul_f32_e32 v35, v7, v17
	v_mul_f32_e32 v17, v6, v17
	s_waitcnt vmcnt(1)
	v_mad_u64_u32 v[29:30], s[2:3], s5, v38, v[23:24]
	v_mov_b32_e32 v30, s6
	v_fmac_f32_e32 v31, v0, v10
	v_mov_b32_e32 v23, v29
	v_lshlrev_b64 v[22:23], 3, v[22:23]
	v_fmac_f32_e32 v34, v4, v14
	v_add_co_u32_e32 v20, vcc, v20, v22
	v_addc_co_u32_e32 v21, vcc, v21, v23, vcc
	v_add_co_u32_e32 v22, vcc, s4, v20
	v_addc_co_u32_e32 v23, vcc, v21, v33, vcc
	;; [unrolled: 2-line block ×3, first 2 shown]
	v_mul_f32_e32 v30, v19, v9
	v_mul_f32_e32 v9, v18, v9
	;; [unrolled: 1-line block ×4, first 2 shown]
	v_fmac_f32_e32 v30, v18, v8
	v_fma_f32 v8, v8, v19, -v9
	v_fma_f32 v9, v10, v1, -v11
	v_fmac_f32_e32 v33, v2, v12
	v_fma_f32 v10, v12, v3, -v13
	v_cvt_f64_f32_e32 v[0:1], v30
	v_cvt_f64_f32_e32 v[2:3], v8
	v_fma_f32 v14, v14, v5, -v15
	v_fmac_f32_e32 v35, v6, v16
	v_fma_f32 v18, v16, v7, -v17
	v_cvt_f64_f32_e32 v[4:5], v31
	v_cvt_f64_f32_e32 v[6:7], v9
	;; [unrolled: 1-line block ×4, first 2 shown]
	v_mul_f64 v[0:1], v[0:1], s[0:1]
	v_mul_f64 v[2:3], v[2:3], s[0:1]
	;; [unrolled: 1-line block ×4, first 2 shown]
	v_cvt_f64_f32_e32 v[12:13], v34
	v_cvt_f64_f32_e32 v[14:15], v14
	v_mul_f64 v[8:9], v[8:9], s[0:1]
	v_mul_f64 v[10:11], v[10:11], s[0:1]
	;; [unrolled: 1-line block ×4, first 2 shown]
	v_cvt_f32_f64_e32 v0, v[0:1]
	v_cvt_f32_f64_e32 v1, v[2:3]
	v_cvt_f64_f32_e32 v[16:17], v35
	v_cvt_f64_f32_e32 v[18:19], v18
	v_cvt_f32_f64_e32 v2, v[4:5]
	v_cvt_f32_f64_e32 v3, v[6:7]
	;; [unrolled: 1-line block ×4, first 2 shown]
	global_store_dwordx2 v[20:21], v[0:1], off
	global_store_dwordx2 v[22:23], v[2:3], off
	global_store_dwordx2 v[28:29], v[4:5], off
	v_mul_f64 v[4:5], v[16:17], s[0:1]
	v_mul_f64 v[8:9], v[18:19], s[0:1]
	ds_read2_b64 v[0:3], v37 offset0:180 offset1:216
	v_cvt_f32_f64_e32 v6, v[12:13]
	v_cvt_f32_f64_e32 v7, v[14:15]
	v_add_co_u32_e32 v10, vcc, s4, v28
	v_addc_co_u32_e32 v11, vcc, v29, v32, vcc
	global_store_dwordx2 v[10:11], v[6:7], off
	s_waitcnt lgkmcnt(0)
	v_mul_f32_e32 v6, v1, v25
	v_fmac_f32_e32 v6, v0, v24
	v_mul_f32_e32 v0, v0, v25
	v_fma_f32 v0, v24, v1, -v0
	v_cvt_f32_f64_e32 v4, v[4:5]
	v_cvt_f32_f64_e32 v5, v[8:9]
	v_cvt_f64_f32_e32 v[6:7], v6
	v_cvt_f64_f32_e32 v[0:1], v0
	v_mov_b32_e32 v9, s6
	v_add_co_u32_e32 v8, vcc, s4, v10
	v_addc_co_u32_e32 v9, vcc, v11, v9, vcc
	global_store_dwordx2 v[8:9], v[4:5], off
	v_mul_f64 v[4:5], v[6:7], s[0:1]
	v_mul_f64 v[0:1], v[0:1], s[0:1]
	s_waitcnt vmcnt(5)
	v_mul_f32_e32 v6, v3, v27
	v_fmac_f32_e32 v6, v2, v26
	v_mul_f32_e32 v2, v2, v27
	v_fma_f32 v2, v26, v3, -v2
	v_cvt_f64_f32_e32 v[6:7], v6
	v_cvt_f64_f32_e32 v[2:3], v2
	v_cvt_f32_f64_e32 v4, v[4:5]
	v_cvt_f32_f64_e32 v5, v[0:1]
	v_mul_f64 v[0:1], v[6:7], s[0:1]
	v_mul_f64 v[2:3], v[2:3], s[0:1]
	v_mov_b32_e32 v7, s6
	v_add_co_u32_e32 v6, vcc, s4, v8
	v_addc_co_u32_e32 v7, vcc, v9, v7, vcc
	global_store_dwordx2 v[6:7], v[4:5], off
	v_cvt_f32_f64_e32 v0, v[0:1]
	v_cvt_f32_f64_e32 v1, v[2:3]
	v_mov_b32_e32 v3, s6
	v_add_co_u32_e32 v2, vcc, s4, v6
	v_addc_co_u32_e32 v3, vcc, v7, v3, vcc
	global_store_dwordx2 v[2:3], v[0:1], off
.LBB0_31:
	s_endpgm
	.section	.rodata,"a",@progbits
	.p2align	6, 0x0
	.amdhsa_kernel bluestein_single_fwd_len252_dim1_sp_op_CI_CI
		.amdhsa_group_segment_fixed_size 2016
		.amdhsa_private_segment_fixed_size 0
		.amdhsa_kernarg_size 104
		.amdhsa_user_sgpr_count 6
		.amdhsa_user_sgpr_private_segment_buffer 1
		.amdhsa_user_sgpr_dispatch_ptr 0
		.amdhsa_user_sgpr_queue_ptr 0
		.amdhsa_user_sgpr_kernarg_segment_ptr 1
		.amdhsa_user_sgpr_dispatch_id 0
		.amdhsa_user_sgpr_flat_scratch_init 0
		.amdhsa_user_sgpr_private_segment_size 0
		.amdhsa_uses_dynamic_stack 0
		.amdhsa_system_sgpr_private_segment_wavefront_offset 0
		.amdhsa_system_sgpr_workgroup_id_x 1
		.amdhsa_system_sgpr_workgroup_id_y 0
		.amdhsa_system_sgpr_workgroup_id_z 0
		.amdhsa_system_sgpr_workgroup_info 0
		.amdhsa_system_vgpr_workitem_id 0
		.amdhsa_next_free_vgpr 58
		.amdhsa_next_free_sgpr 16
		.amdhsa_reserve_vcc 1
		.amdhsa_reserve_flat_scratch 0
		.amdhsa_float_round_mode_32 0
		.amdhsa_float_round_mode_16_64 0
		.amdhsa_float_denorm_mode_32 3
		.amdhsa_float_denorm_mode_16_64 3
		.amdhsa_dx10_clamp 1
		.amdhsa_ieee_mode 1
		.amdhsa_fp16_overflow 0
		.amdhsa_exception_fp_ieee_invalid_op 0
		.amdhsa_exception_fp_denorm_src 0
		.amdhsa_exception_fp_ieee_div_zero 0
		.amdhsa_exception_fp_ieee_overflow 0
		.amdhsa_exception_fp_ieee_underflow 0
		.amdhsa_exception_fp_ieee_inexact 0
		.amdhsa_exception_int_div_zero 0
	.end_amdhsa_kernel
	.text
.Lfunc_end0:
	.size	bluestein_single_fwd_len252_dim1_sp_op_CI_CI, .Lfunc_end0-bluestein_single_fwd_len252_dim1_sp_op_CI_CI
                                        ; -- End function
	.section	.AMDGPU.csdata,"",@progbits
; Kernel info:
; codeLenInByte = 5256
; NumSgprs: 20
; NumVgprs: 58
; ScratchSize: 0
; MemoryBound: 0
; FloatMode: 240
; IeeeMode: 1
; LDSByteSize: 2016 bytes/workgroup (compile time only)
; SGPRBlocks: 2
; VGPRBlocks: 14
; NumSGPRsForWavesPerEU: 20
; NumVGPRsForWavesPerEU: 58
; Occupancy: 4
; WaveLimiterHint : 1
; COMPUTE_PGM_RSRC2:SCRATCH_EN: 0
; COMPUTE_PGM_RSRC2:USER_SGPR: 6
; COMPUTE_PGM_RSRC2:TRAP_HANDLER: 0
; COMPUTE_PGM_RSRC2:TGID_X_EN: 1
; COMPUTE_PGM_RSRC2:TGID_Y_EN: 0
; COMPUTE_PGM_RSRC2:TGID_Z_EN: 0
; COMPUTE_PGM_RSRC2:TIDIG_COMP_CNT: 0
	.type	__hip_cuid_f84e896524d599de,@object ; @__hip_cuid_f84e896524d599de
	.section	.bss,"aw",@nobits
	.globl	__hip_cuid_f84e896524d599de
__hip_cuid_f84e896524d599de:
	.byte	0                               ; 0x0
	.size	__hip_cuid_f84e896524d599de, 1

	.ident	"AMD clang version 19.0.0git (https://github.com/RadeonOpenCompute/llvm-project roc-6.4.0 25133 c7fe45cf4b819c5991fe208aaa96edf142730f1d)"
	.section	".note.GNU-stack","",@progbits
	.addrsig
	.addrsig_sym __hip_cuid_f84e896524d599de
	.amdgpu_metadata
---
amdhsa.kernels:
  - .args:
      - .actual_access:  read_only
        .address_space:  global
        .offset:         0
        .size:           8
        .value_kind:     global_buffer
      - .actual_access:  read_only
        .address_space:  global
        .offset:         8
        .size:           8
        .value_kind:     global_buffer
      - .actual_access:  read_only
        .address_space:  global
        .offset:         16
        .size:           8
        .value_kind:     global_buffer
      - .actual_access:  read_only
        .address_space:  global
        .offset:         24
        .size:           8
        .value_kind:     global_buffer
      - .actual_access:  read_only
        .address_space:  global
        .offset:         32
        .size:           8
        .value_kind:     global_buffer
      - .offset:         40
        .size:           8
        .value_kind:     by_value
      - .address_space:  global
        .offset:         48
        .size:           8
        .value_kind:     global_buffer
      - .address_space:  global
        .offset:         56
        .size:           8
        .value_kind:     global_buffer
      - .address_space:  global
        .offset:         64
        .size:           8
        .value_kind:     global_buffer
      - .address_space:  global
        .offset:         72
        .size:           8
        .value_kind:     global_buffer
      - .offset:         80
        .size:           4
        .value_kind:     by_value
      - .address_space:  global
        .offset:         88
        .size:           8
        .value_kind:     global_buffer
      - .address_space:  global
        .offset:         96
        .size:           8
        .value_kind:     global_buffer
    .group_segment_fixed_size: 2016
    .kernarg_segment_align: 8
    .kernarg_segment_size: 104
    .language:       OpenCL C
    .language_version:
      - 2
      - 0
    .max_flat_workgroup_size: 63
    .name:           bluestein_single_fwd_len252_dim1_sp_op_CI_CI
    .private_segment_fixed_size: 0
    .sgpr_count:     20
    .sgpr_spill_count: 0
    .symbol:         bluestein_single_fwd_len252_dim1_sp_op_CI_CI.kd
    .uniform_work_group_size: 1
    .uses_dynamic_stack: false
    .vgpr_count:     58
    .vgpr_spill_count: 0
    .wavefront_size: 64
amdhsa.target:   amdgcn-amd-amdhsa--gfx906
amdhsa.version:
  - 1
  - 2
...

	.end_amdgpu_metadata
